;; amdgpu-corpus repo=ROCm/rocFFT kind=compiled arch=gfx1030 opt=O3
	.text
	.amdgcn_target "amdgcn-amd-amdhsa--gfx1030"
	.amdhsa_code_object_version 6
	.protected	fft_rtc_fwd_len240_factors_2_3_10_2_2_wgs_180_tpt_20_dim3_sp_ip_CI_sbcc_twdbase8_3step_dirReg_intrinsicReadWrite ; -- Begin function fft_rtc_fwd_len240_factors_2_3_10_2_2_wgs_180_tpt_20_dim3_sp_ip_CI_sbcc_twdbase8_3step_dirReg_intrinsicReadWrite
	.globl	fft_rtc_fwd_len240_factors_2_3_10_2_2_wgs_180_tpt_20_dim3_sp_ip_CI_sbcc_twdbase8_3step_dirReg_intrinsicReadWrite
	.p2align	8
	.type	fft_rtc_fwd_len240_factors_2_3_10_2_2_wgs_180_tpt_20_dim3_sp_ip_CI_sbcc_twdbase8_3step_dirReg_intrinsicReadWrite,@function
fft_rtc_fwd_len240_factors_2_3_10_2_2_wgs_180_tpt_20_dim3_sp_ip_CI_sbcc_twdbase8_3step_dirReg_intrinsicReadWrite: ; @fft_rtc_fwd_len240_factors_2_3_10_2_2_wgs_180_tpt_20_dim3_sp_ip_CI_sbcc_twdbase8_3step_dirReg_intrinsicReadWrite
; %bb.0:
	s_load_dwordx4 s[0:3], s[4:5], 0x10
	s_mov_b64 s[20:21], 0
	s_waitcnt lgkmcnt(0)
	s_load_dwordx2 s[10:11], s[0:1], 0x8
	s_waitcnt lgkmcnt(0)
	s_add_u32 s7, s10, -1
	s_addc_u32 s8, s11, -1
	s_add_u32 s9, 0, 0x71c4fc00
	s_addc_u32 s12, 0, 0x7c
	s_mul_hi_u32 s14, s9, -9
	s_add_i32 s12, s12, 0x1c71c6a0
	s_sub_i32 s14, s14, s9
	s_mul_i32 s16, s12, -9
	s_mul_i32 s13, s9, -9
	s_add_i32 s14, s14, s16
	s_mul_hi_u32 s15, s9, s13
	s_mul_i32 s18, s9, s14
	s_mul_hi_u32 s16, s9, s14
	s_mul_hi_u32 s17, s12, s13
	s_mul_i32 s13, s12, s13
	s_add_u32 s15, s15, s18
	s_addc_u32 s16, 0, s16
	s_mul_hi_u32 s19, s12, s14
	s_add_u32 s13, s15, s13
	s_mul_i32 s14, s12, s14
	s_addc_u32 s13, s16, s17
	s_addc_u32 s15, s19, 0
	s_add_u32 s13, s13, s14
	v_add_co_u32 v1, s9, s9, s13
	s_addc_u32 s13, 0, s15
	s_cmp_lg_u32 s9, 0
	s_addc_u32 s9, s12, s13
	v_readfirstlane_b32 s12, v1
	s_mul_i32 s14, s7, s9
	s_mul_hi_u32 s13, s7, s9
	s_mul_hi_u32 s15, s8, s9
	s_mul_i32 s9, s8, s9
	s_mul_hi_u32 s16, s7, s12
	s_mul_hi_u32 s17, s8, s12
	s_mul_i32 s12, s8, s12
	s_add_u32 s14, s16, s14
	s_addc_u32 s13, 0, s13
	s_add_u32 s12, s14, s12
	s_addc_u32 s12, s13, s17
	s_addc_u32 s13, s15, 0
	s_add_u32 s9, s12, s9
	s_addc_u32 s12, 0, s13
	s_mul_i32 s14, s9, 9
	s_add_u32 s13, s9, 1
	v_sub_co_u32 v1, s7, s7, s14
	s_mul_hi_u32 s14, s9, 9
	s_addc_u32 s15, s12, 0
	s_mul_i32 s16, s12, 9
	v_sub_co_u32 v2, s17, v1, 9
	s_add_u32 s18, s9, 2
	s_addc_u32 s19, s12, 0
	s_add_i32 s14, s14, s16
	s_cmp_lg_u32 s7, 0
	v_readfirstlane_b32 s7, v2
	s_subb_u32 s8, s8, s14
	s_cmp_lg_u32 s17, 0
	s_subb_u32 s14, s8, 0
	s_cmp_gt_u32 s7, 8
	s_cselect_b32 s7, -1, 0
	s_cmp_eq_u32 s14, 0
	v_readfirstlane_b32 s14, v1
	s_cselect_b32 s7, s7, -1
	s_cmp_lg_u32 s7, 0
	s_cselect_b32 s13, s18, s13
	s_cselect_b32 s15, s19, s15
	s_cmp_gt_u32 s14, 8
	s_cselect_b32 s7, -1, 0
	s_cmp_eq_u32 s8, 0
	s_cselect_b32 s7, s7, -1
	s_cmp_lg_u32 s7, 0
	s_mov_b32 s7, 0
	s_cselect_b32 s8, s13, s9
	s_cselect_b32 s9, s15, s12
	s_add_u32 s18, s8, 1
	s_addc_u32 s19, s9, 0
	v_cmp_lt_u64_e64 s8, s[6:7], s[18:19]
	s_and_b32 vcc_lo, exec_lo, s8
	s_cbranch_vccnz .LBB0_2
; %bb.1:
	v_cvt_f32_u32_e32 v1, s18
	s_sub_i32 s9, 0, s18
	s_mov_b32 s21, s7
	v_rcp_iflag_f32_e32 v1, v1
	v_mul_f32_e32 v1, 0x4f7ffffe, v1
	v_cvt_u32_f32_e32 v1, v1
	v_readfirstlane_b32 s8, v1
	s_mul_i32 s9, s9, s8
	s_mul_hi_u32 s9, s8, s9
	s_add_i32 s8, s8, s9
	s_mul_hi_u32 s8, s6, s8
	s_mul_i32 s9, s8, s18
	s_add_i32 s12, s8, 1
	s_sub_i32 s9, s6, s9
	s_sub_i32 s13, s9, s18
	s_cmp_ge_u32 s9, s18
	s_cselect_b32 s8, s12, s8
	s_cselect_b32 s9, s13, s9
	s_add_i32 s12, s8, 1
	s_cmp_ge_u32 s9, s18
	s_cselect_b32 s20, s12, s8
.LBB0_2:
	s_load_dwordx2 s[24:25], s[0:1], 0x10
	s_clause 0x1
	s_load_dwordx2 s[8:9], s[4:5], 0x50
	s_load_dwordx2 s[16:17], s[4:5], 0x0
	s_load_dwordx4 s[12:15], s[2:3], 0x0
	s_waitcnt lgkmcnt(0)
	v_cmp_lt_u64_e64 s0, s[20:21], s[24:25]
	s_and_b32 vcc_lo, exec_lo, s0
	s_mov_b64 s[0:1], s[20:21]
	s_cbranch_vccnz .LBB0_4
; %bb.3:
	v_cvt_f32_u32_e32 v1, s24
	s_sub_i32 s1, 0, s24
	v_rcp_iflag_f32_e32 v1, v1
	v_mul_f32_e32 v1, 0x4f7ffffe, v1
	v_cvt_u32_f32_e32 v1, v1
	v_readfirstlane_b32 s0, v1
	s_mul_i32 s1, s1, s0
	s_mul_hi_u32 s1, s0, s1
	s_add_i32 s0, s0, s1
	s_mul_hi_u32 s0, s20, s0
	s_mul_i32 s0, s0, s24
	s_sub_i32 s0, s20, s0
	s_sub_i32 s1, s0, s24
	s_cmp_ge_u32 s0, s24
	s_cselect_b32 s0, s1, s0
	s_sub_i32 s1, s0, s24
	s_cmp_ge_u32 s0, s24
	s_cselect_b32 s0, s1, s0
.LBB0_4:
	s_load_dwordx2 s[22:23], s[2:3], 0x10
	s_mul_i32 s1, s24, s19
	s_mul_hi_u32 s13, s24, s18
	s_mul_i32 s26, s24, s18
	s_add_i32 s1, s13, s1
	s_mul_i32 s13, s25, s18
	s_mov_b64 s[24:25], 0
	s_add_i32 s27, s1, s13
	v_cmp_lt_u64_e64 s1, s[6:7], s[26:27]
	s_and_b32 vcc_lo, exec_lo, s1
	s_cbranch_vccnz .LBB0_6
; %bb.5:
	v_cvt_f32_u32_e32 v1, s26
	s_sub_i32 s7, 0, s26
	v_rcp_iflag_f32_e32 v1, v1
	v_mul_f32_e32 v1, 0x4f7ffffe, v1
	v_cvt_u32_f32_e32 v1, v1
	v_readfirstlane_b32 s1, v1
	s_mul_i32 s7, s7, s1
	s_mul_hi_u32 s7, s1, s7
	s_add_i32 s1, s1, s7
	s_mul_hi_u32 s1, s6, s1
	s_mul_i32 s7, s1, s26
	s_add_i32 s13, s1, 1
	s_sub_i32 s7, s6, s7
	s_sub_i32 s21, s7, s26
	s_cmp_ge_u32 s7, s26
	s_cselect_b32 s1, s13, s1
	s_cselect_b32 s7, s21, s7
	s_add_i32 s13, s1, 1
	s_cmp_ge_u32 s7, s26
	s_cselect_b32 s24, s13, s1
.LBB0_6:
	v_mul_u32_u24_e32 v26, 0x1c72, v0
	s_load_dword s1, s[2:3], 0x18
	s_mul_i32 s2, s20, s19
	s_mul_hi_u32 s3, s20, s18
	s_mul_i32 s7, s20, s18
	v_lshrrev_b32_e32 v55, 16, v26
	s_add_i32 s3, s3, s2
	s_sub_u32 s2, s6, s7
	s_waitcnt lgkmcnt(0)
	s_mul_i32 s0, s22, s0
	s_mul_hi_u32 s6, s2, 9
	v_mul_lo_u16 v1, v55, 9
	s_mul_i32 s2, s2, 9
	s_subb_u32 s3, 0, s3
	s_mul_i32 s7, s14, s2
	s_mul_i32 s3, s3, 9
	v_sub_nc_u16 v1, v0, v1
	s_add_i32 s0, s0, s7
	s_add_i32 s6, s6, s3
	v_mul_lo_u32 v2, s12, v55
	v_add_nc_u32_e32 v4, 0x8c, v55
	v_and_b32_e32 v3, 0xffff, v1
	s_mul_i32 s1, s1, s24
	v_add_nc_u32_e32 v56, 0x78, v55
	s_add_i32 s3, s1, s0
	s_add_u32 s0, s2, 9
	v_add_co_u32 v39, s2, s2, v3
	v_mad_u64_u32 v[37:38], null, s14, v3, 0
	v_add_co_ci_u32_e64 v40, null, s6, 0, s2
	s_addc_u32 s1, s6, 0
	v_mul_lo_u32 v4, s12, v4
	v_cmp_le_u64_e64 s0, s[0:1], s[10:11]
	v_cmp_gt_u64_e32 vcc_lo, s[10:11], v[39:40]
	v_add_lshl_u32 v2, v37, v2, 3
	v_mul_lo_u32 v1, s12, v56
	v_add_nc_u32_e32 v46, 20, v55
	v_add_nc_u32_e32 v48, 60, v55
	;; [unrolled: 1-line block ×3, first 2 shown]
	s_or_b32 vcc_lo, s0, vcc_lo
	v_add_nc_u32_e32 v13, 0xb4, v55
	v_cndmask_b32_e32 v44, -1, v2, vcc_lo
	v_add_lshl_u32 v2, v37, v4, 3
	v_or_b32_e32 v4, 0xa0, v55
	v_mul_lo_u32 v5, s12, v46
	v_mul_lo_u32 v12, s12, v48
	v_add_nc_u32_e32 v47, 0x50, v55
	v_add_nc_u32_e32 v14, 0xc8, v55
	v_mul_lo_u32 v11, s12, v4
	v_add_nc_u32_e32 v49, 0x64, v55
	v_add_nc_u32_e32 v15, 0xdc, v55
	v_mul_lo_u32 v10, s12, v50
	v_add_lshl_u32 v1, v37, v1, 3
	v_mul_lo_u32 v13, s12, v13
	v_mul_lo_u32 v16, s12, v47
	;; [unrolled: 1-line block ×5, first 2 shown]
	v_cndmask_b32_e32 v45, -1, v1, vcc_lo
	v_add_lshl_u32 v1, v37, v5, 3
	v_add_lshl_u32 v11, v37, v11, 3
	;; [unrolled: 1-line block ×4, first 2 shown]
	s_lshl_b32 s6, s3, 3
	v_cndmask_b32_e32 v6, -1, v1, vcc_lo
	v_cndmask_b32_e32 v18, -1, v11, vcc_lo
	v_add_lshl_u32 v11, v37, v13, 3
	s_mov_b32 s11, 0x31014000
	s_mov_b32 s10, -2
	v_cndmask_b32_e32 v8, -1, v2, vcc_lo
	v_cndmask_b32_e32 v19, -1, v12, vcc_lo
	v_add_lshl_u32 v12, v37, v16, 3
	v_add_lshl_u32 v13, v37, v14, 3
	;; [unrolled: 1-line block ×4, first 2 shown]
	v_cndmask_b32_e32 v10, -1, v10, vcc_lo
	s_clause 0x3
	buffer_load_dwordx2 v[1:2], v44, s[8:11], s6 offen
	buffer_load_dwordx2 v[4:5], v45, s[8:11], s6 offen
	;; [unrolled: 1-line block ×4, first 2 shown]
	v_cndmask_b32_e32 v16, -1, v11, vcc_lo
	v_cndmask_b32_e32 v20, -1, v12, vcc_lo
	;; [unrolled: 1-line block ×5, first 2 shown]
	s_clause 0x7
	buffer_load_dwordx2 v[10:11], v10, s[8:11], s6 offen
	buffer_load_dwordx2 v[12:13], v18, s[8:11], s6 offen
	;; [unrolled: 1-line block ×8, first 2 shown]
	v_mul_u32_u24_e32 v27, 0x90, v55
	v_lshlrev_b32_e32 v57, 3, v3
	v_bfe_u32 v28, v26, 16, 1
	v_cmp_gt_u32_e64 s0, 36, v0
	v_add3_u32 v27, 0, v27, v57
	v_lshlrev_b32_e32 v29, 4, v28
	v_add_nc_u32_e32 v30, 0x800, v27
	v_add_nc_u32_e32 v31, 0x1000, v27
	;; [unrolled: 1-line block ×5, first 2 shown]
	s_waitcnt vmcnt(10)
	v_sub_f32_e32 v4, v1, v4
	v_sub_f32_e32 v5, v2, v5
	s_waitcnt vmcnt(8)
	v_sub_f32_e32 v8, v6, v8
	v_sub_f32_e32 v9, v7, v9
	;; [unrolled: 3-line block ×6, first 2 shown]
	v_fma_f32 v1, v1, 2.0, -v4
	v_fma_f32 v2, v2, 2.0, -v5
	;; [unrolled: 1-line block ×12, first 2 shown]
	ds_write2_b64 v27, v[1:2], v[4:5] offset1:9
	ds_write2_b64 v30, v[6:7], v[8:9] offset0:104 offset1:113
	ds_write2_b64 v31, v[10:11], v[12:13] offset0:208 offset1:217
	ds_write_b64 v27, v[14:15] offset:8640
	ds_write2_b32 v32, v16, v17 offset0:130 offset1:131
	ds_write2_b32 v33, v18, v19 offset0:64 offset1:65
	;; [unrolled: 1-line block ×5, first 2 shown]
	s_waitcnt lgkmcnt(0)
	s_barrier
	buffer_gl0_inv
	global_load_dwordx4 v[4:7], v29, s[16:17]
	v_lshrrev_b32_e32 v1, 17, v26
	v_lshrrev_b32_e32 v9, 1, v48
	;; [unrolled: 1-line block ×4, first 2 shown]
	v_mul_u32_u24_e32 v10, 0x48, v55
	v_mul_u32_u24_e32 v1, 6, v1
	;; [unrolled: 1-line block ×5, first 2 shown]
	v_mul_i32_i24_e32 v11, 0xffffffb8, v47
	v_or_b32_e32 v1, v1, v28
	v_or_b32_e32 v9, v9, v28
	v_add3_u32 v52, 0, v10, v57
	v_or_b32_e32 v2, v2, v28
	v_or_b32_e32 v8, v8, v28
	v_mul_u32_u24_e32 v1, 0x48, v1
	v_mul_u32_u24_e32 v12, 0x48, v9
	v_add3_u32 v51, 0x2d00, v27, v11
	v_add_nc_u32_e32 v13, 0x3200, v52
	v_add_nc_u32_e32 v16, 0x2600, v52
	v_add3_u32 v30, 0, v1, v57
	v_mul_u32_u24_e32 v1, 0x48, v2
	v_mul_u32_u24_e32 v2, 0x48, v8
	v_add_nc_u32_e32 v8, 0x1c00, v52
	ds_read_b64 v[20:21], v51
	ds_read2_b64 v[8:11], v8 offset0:4 offset1:184
	v_add3_u32 v33, 0, v12, v57
	v_add_nc_u32_e32 v53, 0xffffef20, v51
	ds_read2_b64 v[12:15], v13 offset0:20 offset1:200
	ds_read2_b64 v[16:19], v16 offset0:44 offset1:224
	v_add3_u32 v31, 0, v1, v57
	v_add3_u32 v32, 0, v2, v57
	v_add_nc_u32_e32 v1, 0x400, v53
	v_add_nc_u32_e32 v2, 0x800, v53
	ds_read2_b32 v[22:23], v53 offset1:1
	ds_read_b64 v[24:25], v52
	ds_read_b64 v[26:27], v52 offset:15840
	ds_read2_b32 v[28:29], v1 offset0:104 offset1:105
	ds_read2_b32 v[1:2], v2 offset0:208 offset1:209
	v_add_nc_u32_e32 v34, 0xd00, v52
	v_add_nc_u32_e32 v42, 0x1a00, v52
	;; [unrolled: 1-line block ×4, first 2 shown]
	s_waitcnt vmcnt(0) lgkmcnt(0)
	s_barrier
	buffer_gl0_inv
	v_mul_f32_e32 v35, v5, v21
	v_mul_f32_e32 v36, v5, v9
	;; [unrolled: 1-line block ×16, first 2 shown]
	v_fmac_f32_e32 v58, v4, v11
	v_fmac_f32_e32 v60, v6, v13
	v_fma_f32 v11, v6, v18, -v63
	v_fmac_f32_e32 v64, v6, v19
	v_fma_f32 v13, v4, v20, -v35
	;; [unrolled: 2-line block ×4, first 2 shown]
	v_fma_f32 v8, v4, v10, -v41
	v_fma_f32 v10, v6, v14, -v61
	v_fmac_f32_e32 v62, v6, v15
	v_fma_f32 v12, v4, v16, -v65
	v_fmac_f32_e32 v66, v4, v17
	;; [unrolled: 2-line block ×3, first 2 shown]
	v_add_f32_e32 v15, v13, v11
	v_add_f32_e32 v17, v5, v64
	;; [unrolled: 1-line block ×4, first 2 shown]
	v_sub_f32_e32 v20, v40, v60
	v_add_f32_e32 v21, v23, v40
	v_add_f32_e32 v36, v8, v10
	v_sub_f32_e32 v40, v58, v62
	v_add_f32_e32 v41, v29, v58
	v_add_f32_e32 v58, v58, v62
	v_add_f32_e32 v4, v24, v13
	v_sub_f32_e32 v16, v5, v64
	v_add_f32_e32 v6, v25, v5
	v_sub_f32_e32 v18, v13, v11
	v_add_f32_e32 v13, v22, v7
	v_add_f32_e32 v63, v12, v14
	v_sub_f32_e32 v65, v66, v68
	v_add_f32_e32 v67, v2, v66
	v_add_f32_e32 v66, v66, v68
	v_fma_f32 v24, -0.5, v15, v24
	v_fmac_f32_e32 v25, -0.5, v17
	v_sub_f32_e32 v27, v7, v9
	v_add_f32_e32 v35, v28, v8
	v_add_f32_e32 v61, v1, v12
	v_fma_f32 v22, -0.5, v19, v22
	v_fmac_f32_e32 v23, -0.5, v26
	v_sub_f32_e32 v59, v8, v10
	v_fma_f32 v28, -0.5, v36, v28
	v_fmac_f32_e32 v29, -0.5, v58
	v_sub_f32_e32 v69, v12, v14
	v_add_f32_e32 v4, v4, v11
	v_add_f32_e32 v5, v6, v64
	;; [unrolled: 1-line block ×3, first 2 shown]
	v_fma_f32 v1, -0.5, v63, v1
	v_fmac_f32_e32 v2, -0.5, v66
	v_fmamk_f32 v12, v16, 0x3f5db3d7, v24
	v_fmamk_f32 v13, v18, 0xbf5db3d7, v25
	v_fmac_f32_e32 v24, 0xbf5db3d7, v16
	v_fmac_f32_e32 v25, 0x3f5db3d7, v18
	v_add_f32_e32 v7, v21, v60
	v_add_f32_e32 v8, v35, v10
	;; [unrolled: 1-line block ×3, first 2 shown]
	v_fmamk_f32 v14, v20, 0x3f5db3d7, v22
	v_fmamk_f32 v15, v27, 0xbf5db3d7, v23
	v_fmac_f32_e32 v22, 0xbf5db3d7, v20
	v_fmac_f32_e32 v23, 0x3f5db3d7, v27
	v_add_f32_e32 v9, v41, v62
	v_fmamk_f32 v16, v40, 0x3f5db3d7, v28
	v_fmac_f32_e32 v28, 0xbf5db3d7, v40
	v_fmamk_f32 v17, v59, 0xbf5db3d7, v29
	v_fmac_f32_e32 v29, 0x3f5db3d7, v59
	v_add_f32_e32 v11, v67, v68
	v_fmamk_f32 v40, v65, 0x3f5db3d7, v1
	v_fmac_f32_e32 v1, 0xbf5db3d7, v65
	v_fmamk_f32 v41, v69, 0xbf5db3d7, v2
	v_fmac_f32_e32 v2, 0x3f5db3d7, v69
	ds_write2_b64 v30, v[4:5], v[12:13] offset1:18
	ds_write_b64 v30, v[24:25] offset:288
	ds_write2_b64 v31, v[6:7], v[14:15] offset1:18
	ds_write_b64 v31, v[22:23] offset:288
	ds_write2_b64 v32, v[8:9], v[16:17] offset1:18
	ds_write_b64 v32, v[28:29] offset:288
	ds_write2_b64 v33, v[10:11], v[40:41] offset1:18
	ds_write_b64 v33, v[1:2] offset:288
	s_waitcnt lgkmcnt(0)
	s_barrier
	buffer_gl0_inv
	ds_read2_b64 v[17:20], v52 offset1:216
	ds_read2_b64 v[33:36], v34 offset0:16 offset1:232
	ds_read2_b64 v[29:32], v42 offset0:32 offset1:248
	;; [unrolled: 1-line block ×3, first 2 shown]
	ds_read2_b64 v[21:24], v54 offset1:216
	v_mov_b32_e32 v4, v38
                                        ; implicit-def: $vgpr43
                                        ; implicit-def: $vgpr8
                                        ; implicit-def: $vgpr12
                                        ; implicit-def: $vgpr16
	v_mad_u64_u32 v[3:4], null, s15, v3, v[4:5]
	s_and_saveexec_b32 s1, s0
	s_cbranch_execz .LBB0_8
; %bb.7:
	v_add_nc_u32_e32 v1, 0xc00, v52
	v_add_nc_u32_e32 v5, 0x1900, v52
	;; [unrolled: 1-line block ×4, first 2 shown]
	ds_read2_b32 v[40:41], v53 offset1:1
	ds_read2_b64 v[1:4], v1 offset0:12 offset1:228
	ds_read2_b64 v[13:16], v5 offset0:28 offset1:244
	;; [unrolled: 1-line block ×4, first 2 shown]
	ds_read_b64 v[42:43], v52 offset:16992
.LBB0_8:
	s_or_b32 exec_lo, exec_lo, s1
	v_mul_lo_u16 v58, v55, 43
	v_add_nc_u32_e32 v54, 0x5a0, v53
	v_add_nc_u32_e32 v38, 0xb40, v53
	v_lshrrev_b16 v58, 8, v58
	v_mul_lo_u16 v59, v58, 6
	v_and_b32_e32 v58, 0xffff, v58
	v_sub_nc_u16 v59, v55, v59
	v_and_b32_e32 v59, 0xff, v59
	v_mul_u32_u24_e32 v60, 9, v59
	v_mad_u32_u24 v58, v58, 60, v59
	v_lshlrev_b32_e32 v76, 3, v60
	v_mul_u32_u24_e32 v58, 0x48, v58
	s_clause 0x3
	global_load_dwordx4 v[60:63], v76, s[16:17] offset:80
	global_load_dwordx4 v[64:67], v76, s[16:17] offset:64
	;; [unrolled: 1-line block ×4, first 2 shown]
	v_add3_u32 v58, 0, v58, v57
	s_waitcnt vmcnt(0) lgkmcnt(4)
	v_mul_f32_e32 v77, v73, v20
	v_mul_f32_e32 v73, v73, v19
	v_fma_f32 v77, v72, v19, -v77
	s_waitcnt lgkmcnt(3)
	v_mul_f32_e32 v19, v75, v34
	v_fmac_f32_e32 v73, v72, v20
	v_fma_f32 v72, v74, v33, -v19
	v_mul_f32_e32 v33, v75, v33
	v_mul_f32_e32 v19, v69, v36
	v_fmac_f32_e32 v33, v74, v34
	v_fma_f32 v34, v68, v35, -v19
	v_mul_f32_e32 v35, v69, v35
	s_waitcnt lgkmcnt(2)
	v_mul_f32_e32 v19, v71, v30
	v_fmac_f32_e32 v35, v68, v36
	v_fma_f32 v36, v70, v29, -v19
	v_mul_f32_e32 v29, v71, v29
	v_mul_f32_e32 v19, v65, v32
	v_fmac_f32_e32 v29, v70, v30
	v_fma_f32 v30, v64, v31, -v19
	v_mul_f32_e32 v31, v65, v31
	;; [unrolled: 9-line block ×3, first 2 shown]
	s_waitcnt lgkmcnt(0)
	v_mul_f32_e32 v19, v63, v22
	v_sub_f32_e32 v61, v29, v25
	v_fmac_f32_e32 v27, v60, v28
	v_fma_f32 v28, v62, v21, -v19
	global_load_dwordx2 v[19:20], v76, s[16:17] offset:96
	v_mul_f32_e32 v21, v63, v21
	s_waitcnt vmcnt(0)
	s_barrier
	v_sub_f32_e32 v63, v28, v32
	v_sub_f32_e32 v64, v32, v28
	v_fmac_f32_e32 v21, v62, v22
	v_sub_f32_e32 v62, v72, v36
	buffer_gl0_inv
	v_add_f32_e32 v62, v62, v63
	v_sub_f32_e32 v63, v36, v72
	v_add_f32_e32 v63, v63, v64
	v_mul_f32_e32 v22, v24, v20
	v_mul_f32_e32 v20, v23, v20
	v_fma_f32 v22, v23, v19, -v22
	v_add_f32_e32 v23, v36, v32
	v_fmac_f32_e32 v20, v24, v19
	v_add_f32_e32 v19, v17, v72
	v_fma_f32 v24, -0.5, v23, v17
	v_sub_f32_e32 v23, v33, v21
	v_add_f32_e32 v19, v19, v36
	v_fmamk_f32 v60, v23, 0x3f737871, v24
	v_fmac_f32_e32 v24, 0xbf737871, v23
	v_add_f32_e32 v19, v19, v32
	v_fmac_f32_e32 v60, 0x3f167918, v61
	v_fmac_f32_e32 v24, 0xbf167918, v61
	v_add_f32_e32 v19, v19, v28
	v_fmac_f32_e32 v60, 0x3e9e377a, v62
	v_fmac_f32_e32 v24, 0x3e9e377a, v62
	v_add_f32_e32 v62, v72, v28
	v_fma_f32 v17, -0.5, v62, v17
	v_fmamk_f32 v62, v61, 0xbf737871, v17
	v_fmac_f32_e32 v17, 0x3f737871, v61
	v_fmac_f32_e32 v62, 0x3f167918, v23
	;; [unrolled: 1-line block ×3, first 2 shown]
	v_add_f32_e32 v23, v18, v33
	v_fmac_f32_e32 v62, 0x3e9e377a, v63
	v_fmac_f32_e32 v17, 0x3e9e377a, v63
	v_add_f32_e32 v23, v23, v29
	v_add_f32_e32 v23, v23, v25
	;; [unrolled: 1-line block ×4, first 2 shown]
	v_fma_f32 v63, -0.5, v23, v18
	v_sub_f32_e32 v23, v72, v28
	v_sub_f32_e32 v28, v36, v32
	;; [unrolled: 1-line block ×5, first 2 shown]
	v_fmamk_f32 v64, v23, 0xbf737871, v63
	v_fmac_f32_e32 v63, 0x3f737871, v23
	v_add_f32_e32 v32, v32, v36
	v_fmac_f32_e32 v64, 0xbf167918, v28
	v_fmac_f32_e32 v63, 0x3f167918, v28
	;; [unrolled: 1-line block ×4, first 2 shown]
	v_add_f32_e32 v32, v33, v21
	v_sub_f32_e32 v21, v25, v21
	v_sub_f32_e32 v25, v35, v20
	;; [unrolled: 1-line block ×3, first 2 shown]
	v_fma_f32 v18, -0.5, v32, v18
	v_add_f32_e32 v21, v29, v21
	v_sub_f32_e32 v29, v31, v27
	v_sub_f32_e32 v32, v34, v30
	v_fmamk_f32 v65, v28, 0x3f737871, v18
	v_fmac_f32_e32 v18, 0xbf737871, v28
	v_add_f32_e32 v32, v32, v33
	v_sub_f32_e32 v33, v26, v22
	v_fmac_f32_e32 v65, 0xbf167918, v23
	v_fmac_f32_e32 v18, 0x3f167918, v23
	v_add_f32_e32 v23, v30, v26
	v_fmac_f32_e32 v65, 0x3e9e377a, v21
	v_fmac_f32_e32 v18, 0x3e9e377a, v21
	v_fma_f32 v23, -0.5, v23, v77
	v_add_f32_e32 v21, v77, v34
	v_fmamk_f32 v28, v25, 0x3f737871, v23
	v_fmac_f32_e32 v23, 0xbf737871, v25
	v_add_f32_e32 v21, v21, v30
	v_fmac_f32_e32 v28, 0x3f167918, v29
	v_fmac_f32_e32 v23, 0xbf167918, v29
	v_add_f32_e32 v21, v21, v26
	v_fmac_f32_e32 v28, 0x3e9e377a, v32
	v_fmac_f32_e32 v23, 0x3e9e377a, v32
	v_add_f32_e32 v32, v34, v22
	v_add_f32_e32 v21, v21, v22
	v_sub_f32_e32 v22, v34, v22
	v_mul_f32_e32 v70, 0xbf167918, v28
	v_fmac_f32_e32 v77, -0.5, v32
	v_sub_f32_e32 v32, v30, v34
	v_fmamk_f32 v36, v29, 0xbf737871, v77
	v_fmac_f32_e32 v77, 0x3f737871, v29
	v_add_f32_e32 v32, v32, v33
	v_sub_f32_e32 v29, v20, v27
	v_fmac_f32_e32 v36, 0x3f167918, v25
	v_fmac_f32_e32 v77, 0xbf167918, v25
	v_add_f32_e32 v25, v73, v35
	v_fmac_f32_e32 v36, 0x3e9e377a, v32
	v_fmac_f32_e32 v77, 0x3e9e377a, v32
	v_add_f32_e32 v25, v25, v31
	v_mul_f32_e32 v71, 0xbf737871, v36
	v_add_f32_e32 v25, v25, v27
	v_add_f32_e32 v66, v25, v20
	v_add_f32_e32 v25, v31, v27
	v_fma_f32 v67, -0.5, v25, v73
	v_sub_f32_e32 v25, v30, v26
	v_sub_f32_e32 v26, v35, v31
	v_add_f32_e32 v30, v61, v66
	v_fmamk_f32 v32, v22, 0xbf737871, v67
	v_fmac_f32_e32 v67, 0x3f737871, v22
	v_add_f32_e32 v26, v26, v29
	v_sub_f32_e32 v29, v31, v35
	v_fmac_f32_e32 v32, 0xbf167918, v25
	v_fmac_f32_e32 v67, 0x3f167918, v25
	v_fmac_f32_e32 v32, 0x3e9e377a, v26
	v_fmac_f32_e32 v67, 0x3e9e377a, v26
	v_add_f32_e32 v26, v35, v20
	v_sub_f32_e32 v20, v27, v20
	v_sub_f32_e32 v27, v19, v21
	v_fmac_f32_e32 v70, 0x3f4f1bbd, v32
	v_fmac_f32_e32 v73, -0.5, v26
	v_add_f32_e32 v20, v29, v20
	v_add_f32_e32 v29, v19, v21
	v_fmamk_f32 v26, v25, 0x3f737871, v73
	v_fmac_f32_e32 v73, 0xbf737871, v25
	v_mul_f32_e32 v25, 0x3e9e377a, v77
	v_fmac_f32_e32 v26, 0xbf167918, v22
	v_fmac_f32_e32 v73, 0x3f167918, v22
	;; [unrolled: 1-line block ×4, first 2 shown]
	v_mul_f32_e32 v20, 0x3f167918, v32
	v_add_f32_e32 v32, v64, v70
	v_mul_f32_e32 v22, 0x3f737871, v26
	v_fmac_f32_e32 v71, 0x3e9e377a, v26
	v_mul_f32_e32 v26, 0x3e9e377a, v73
	v_fmac_f32_e32 v20, 0x3f4f1bbd, v28
	v_fma_f32 v68, 0x3f737871, v73, -v25
	v_mul_f32_e32 v25, 0x3f4f1bbd, v23
	v_fmac_f32_e32 v22, 0x3e9e377a, v36
	v_fma_f32 v72, 0xbf737871, v77, -v26
	v_mul_f32_e32 v26, 0x3f4f1bbd, v67
	v_add_f32_e32 v31, v60, v20
	v_fma_f32 v69, 0x3f167918, v67, -v25
	v_add_f32_e32 v33, v62, v22
	v_add_f32_e32 v35, v17, v68
	v_fma_f32 v67, 0xbf167918, v23, -v26
	v_add_f32_e32 v34, v65, v71
	v_add_f32_e32 v36, v18, v72
	;; [unrolled: 1-line block ×3, first 2 shown]
	v_sub_f32_e32 v28, v61, v66
	v_add_f32_e32 v26, v63, v67
	ds_write2_b64 v58, v[29:30], v[31:32] offset1:54
	ds_write2_b64 v58, v[33:34], v[35:36] offset0:108 offset1:162
	v_add_nc_u32_e32 v29, 0x400, v58
	v_sub_f32_e32 v21, v60, v20
	v_sub_f32_e32 v23, v62, v22
	;; [unrolled: 1-line block ×5, first 2 shown]
	ds_write2_b64 v29, v[25:26], v[27:28] offset0:88 offset1:142
	v_add_nc_u32_e32 v25, 0x800, v58
	v_sub_f32_e32 v17, v17, v68
	v_sub_f32_e32 v18, v18, v72
	;; [unrolled: 1-line block ×3, first 2 shown]
	ds_write2_b64 v25, v[21:22], v[23:24] offset0:68 offset1:122
	ds_write2_b64 v25, v[17:18], v[19:20] offset0:176 offset1:230
	s_and_saveexec_b32 s1, s0
	s_cbranch_execz .LBB0_10
; %bb.9:
	v_mul_lo_u16 v17, v46, 43
	v_mov_b32_e32 v18, 3
	v_lshrrev_b16 v17, 8, v17
	v_mul_lo_u16 v17, v17, 6
	v_sub_nc_u16 v17, v46, v17
	v_mul_lo_u16 v17, v17, 9
	v_lshlrev_b32_sdwa v35, v18, v17 dst_sel:DWORD dst_unused:UNUSED_PAD src0_sel:DWORD src1_sel:BYTE_0
	s_clause 0x4
	global_load_dwordx4 v[17:20], v35, s[16:17] offset:32
	global_load_dwordx4 v[21:24], v35, s[16:17] offset:48
	;; [unrolled: 1-line block ×4, first 2 shown]
	global_load_dwordx2 v[33:34], v35, s[16:17] offset:96
	v_add3_u32 v35, 0, v35, v57
	v_add_nc_u32_e32 v36, 0x3000, v35
	v_add_nc_u32_e32 v58, 0x3800, v35
	;; [unrolled: 1-line block ×3, first 2 shown]
	s_waitcnt vmcnt(4)
	v_mul_f32_e32 v59, v3, v20
	s_waitcnt vmcnt(3)
	v_mul_f32_e32 v60, v15, v24
	;; [unrolled: 2-line block ×4, first 2 shown]
	v_mul_f32_e32 v32, v12, v32
	v_mul_f32_e32 v63, v14, v22
	;; [unrolled: 1-line block ×3, first 2 shown]
	s_waitcnt vmcnt(0)
	v_mul_f32_e32 v65, v43, v34
	v_mul_f32_e32 v66, v6, v26
	;; [unrolled: 1-line block ×11, first 2 shown]
	v_fmac_f32_e32 v59, v4, v19
	v_fmac_f32_e32 v60, v16, v23
	;; [unrolled: 1-line block ×4, first 2 shown]
	v_fma_f32 v8, v11, v31, -v32
	v_fma_f32 v11, v13, v21, -v63
	;; [unrolled: 1-line block ×5, first 2 shown]
	v_fmac_f32_e32 v22, v14, v21
	v_fmac_f32_e32 v34, v43, v33
	;; [unrolled: 1-line block ×4, first 2 shown]
	v_fma_f32 v4, v15, v23, -v24
	v_fma_f32 v3, v3, v19, -v20
	;; [unrolled: 1-line block ×4, first 2 shown]
	v_fmac_f32_e32 v18, v2, v17
	v_sub_f32_e32 v2, v59, v60
	v_sub_f32_e32 v6, v61, v62
	v_add_f32_e32 v14, v60, v62
	v_sub_f32_e32 v15, v11, v9
	v_sub_f32_e32 v16, v12, v5
	v_add_f32_e32 v17, v9, v5
	v_add_f32_e32 v27, v30, v26
	;; [unrolled: 1-line block ×4, first 2 shown]
	v_sub_f32_e32 v13, v3, v7
	v_sub_f32_e32 v19, v22, v34
	;; [unrolled: 1-line block ×9, first 2 shown]
	v_add_f32_e32 v22, v18, v22
	v_sub_f32_e32 v66, v3, v4
	v_sub_f32_e32 v70, v4, v3
	v_add_f32_e32 v72, v3, v7
	v_add_f32_e32 v3, v40, v3
	;; [unrolled: 1-line block ×4, first 2 shown]
	v_fma_f32 v73, -0.5, v14, v41
	v_add_f32_e32 v6, v15, v16
	v_fma_f32 v14, -0.5, v17, v1
	v_fma_f32 v16, -0.5, v27, v18
	;; [unrolled: 1-line block ×3, first 2 shown]
	v_sub_f32_e32 v20, v30, v26
	v_sub_f32_e32 v28, v60, v59
	;; [unrolled: 1-line block ×3, first 2 shown]
	v_add_f32_e32 v31, v59, v61
	v_add_f32_e32 v65, v41, v59
	v_fma_f32 v27, -0.5, v42, v1
	v_sub_f32_e32 v10, v4, v8
	v_sub_f32_e32 v63, v26, v34
	v_add_f32_e32 v68, v4, v8
	v_add_f32_e32 v15, v21, v23
	v_add_f32_e32 v23, v32, v33
	v_add_f32_e32 v3, v3, v4
	v_add_f32_e32 v4, v11, v9
	v_fmamk_f32 v9, v19, 0xbf737871, v14
	v_fmamk_f32 v33, v25, 0x3f737871, v16
	;; [unrolled: 1-line block ×3, first 2 shown]
	v_fmac_f32_e32 v16, 0xbf737871, v25
	v_fmac_f32_e32 v14, 0x3f737871, v19
	v_add_f32_e32 v17, v28, v29
	v_fma_f32 v21, -0.5, v31, v41
	v_add_f32_e32 v28, v65, v60
	v_add_f32_e32 v22, v22, v30
	v_fmamk_f32 v41, v20, 0x3f737871, v27
	v_fmac_f32_e32 v18, 0x3f737871, v24
	v_fmac_f32_e32 v27, 0xbf737871, v20
	v_sub_f32_e32 v59, v59, v61
	v_add_f32_e32 v1, v43, v63
	v_fma_f32 v30, -0.5, v68, v40
	v_fmac_f32_e32 v42, 0x3f167918, v25
	v_fmac_f32_e32 v16, 0xbf167918, v24
	;; [unrolled: 1-line block ×3, first 2 shown]
	v_sub_f32_e32 v69, v60, v62
	v_fma_f32 v32, -0.5, v72, v40
	v_fmamk_f32 v11, v13, 0x3f737871, v73
	v_fmamk_f32 v40, v10, 0xbf737871, v21
	v_fmac_f32_e32 v21, 0x3f737871, v10
	v_fmac_f32_e32 v73, 0xbf737871, v13
	v_add_f32_e32 v28, v28, v62
	v_add_f32_e32 v22, v22, v26
	;; [unrolled: 1-line block ×4, first 2 shown]
	v_fmac_f32_e32 v33, 0x3f167918, v24
	v_fmac_f32_e32 v41, 0xbf167918, v19
	;; [unrolled: 1-line block ×5, first 2 shown]
	v_sub_f32_e32 v67, v7, v8
	v_fmamk_f32 v26, v59, 0xbf737871, v30
	v_fmac_f32_e32 v30, 0x3f737871, v59
	v_fmac_f32_e32 v42, 0x3e9e377a, v1
	;; [unrolled: 1-line block ×4, first 2 shown]
	v_sub_f32_e32 v71, v8, v7
	v_fmamk_f32 v43, v69, 0x3f737871, v32
	v_fmac_f32_e32 v32, 0xbf737871, v69
	v_fmac_f32_e32 v11, 0x3f167918, v10
	;; [unrolled: 1-line block ×5, first 2 shown]
	v_add_f32_e32 v5, v28, v61
	v_add_f32_e32 v8, v22, v34
	;; [unrolled: 1-line block ×4, first 2 shown]
	v_fmac_f32_e32 v33, 0x3e9e377a, v15
	v_fmac_f32_e32 v41, 0x3e9e377a, v23
	;; [unrolled: 1-line block ×5, first 2 shown]
	v_add_f32_e32 v29, v66, v67
	v_fmac_f32_e32 v30, 0x3f167918, v69
	v_mul_f32_e32 v6, 0x3e9e377a, v42
	v_mul_f32_e32 v13, 0xbf167918, v14
	;; [unrolled: 1-line block ×3, first 2 shown]
	v_add_f32_e32 v31, v70, v71
	v_fmac_f32_e32 v43, 0xbf167918, v59
	v_fmac_f32_e32 v32, 0x3f167918, v59
	;; [unrolled: 1-line block ×6, first 2 shown]
	v_sub_f32_e32 v2, v5, v8
	v_sub_f32_e32 v1, v3, v7
	v_add_f32_e32 v4, v5, v8
	v_add_f32_e32 v3, v3, v7
	v_mul_f32_e32 v5, 0x3f4f1bbd, v33
	v_mul_f32_e32 v7, 0xbf737871, v27
	;; [unrolled: 1-line block ×4, first 2 shown]
	v_fmac_f32_e32 v26, 0xbf167918, v69
	v_mul_f32_e32 v8, 0x3f4f1bbd, v9
	v_fmac_f32_e32 v30, 0x3e9e377a, v29
	v_fma_f32 v19, 0xbf737871, v41, -v6
	v_fmac_f32_e32 v13, 0x3f4f1bbd, v16
	v_fmac_f32_e32 v22, 0x3f4f1bbd, v14
	;; [unrolled: 1-line block ×4, first 2 shown]
	v_fma_f32 v15, 0xbf167918, v9, -v5
	v_fmac_f32_e32 v7, 0x3e9e377a, v18
	v_fma_f32 v24, 0x3f737871, v42, -v10
	v_fmac_f32_e32 v17, 0x3e9e377a, v27
	v_fmac_f32_e32 v26, 0x3e9e377a, v29
	v_fma_f32 v23, 0x3f167918, v33, -v8
	v_sub_f32_e32 v8, v40, v19
	v_add_f32_e32 v16, v40, v19
	v_add_f32_e32 v20, v73, v13
	;; [unrolled: 1-line block ×3, first 2 shown]
	v_sub_f32_e32 v6, v11, v15
	v_sub_f32_e32 v9, v32, v17
	v_add_f32_e32 v14, v11, v15
	v_add_f32_e32 v18, v21, v7
	;; [unrolled: 1-line block ×4, first 2 shown]
	v_sub_f32_e32 v12, v73, v13
	v_add_f32_e32 v13, v26, v23
	v_sub_f32_e32 v10, v21, v7
	v_sub_f32_e32 v11, v30, v22
	;; [unrolled: 1-line block ×4, first 2 shown]
	ds_write2_b64 v36, v[3:4], v[19:20] offset0:84 offset1:138
	ds_write2_b64 v36, v[17:18], v[15:16] offset0:192 offset1:246
	;; [unrolled: 1-line block ×5, first 2 shown]
.LBB0_10:
	s_or_b32 exec_lo, exec_lo, s1
	v_mul_lo_u16 v1, 0x45, v46
	v_subrev_nc_u32_e32 v36, 60, v55
	v_cmp_gt_u32_e64 s0, 0x21c, v0
	v_mov_b32_e32 v2, 0
	v_mul_lo_u16 v3, 0x89, v50
	v_lshrrev_b16 v40, 12, v1
	v_mul_lo_u16 v6, 0x89, v48
	v_cndmask_b32_e64 v1, v36, v55, s0
	s_waitcnt lgkmcnt(0)
	v_lshrrev_b16 v41, 13, v3
	v_mul_lo_u16 v5, v40, 60
	v_lshrrev_b16 v42, 13, v6
	v_lshlrev_b64 v[3:4], 3, v[1:2]
	s_barrier
	v_mul_lo_u16 v7, v41, 60
	v_sub_nc_u16 v5, v46, v5
	buffer_gl0_inv
	v_lshlrev_b32_e32 v80, 3, v55
	v_add_co_u32 v3, s1, s16, v3
	v_add_co_ci_u32_e64 v4, s1, s17, v4, s1
	v_and_b32_e32 v43, 0xff, v5
	v_sub_nc_u16 v5, v50, v7
	v_cmp_lt_u32_e64 s1, 0x21b, v0
	global_load_dwordx2 v[18:19], v[3:4], off offset:464
	v_mul_lo_u16 v3, v42, 60
	v_mul_lo_u16 v4, 0x89, v47
	v_and_b32_e32 v58, 0xff, v5
	v_lshlrev_b32_e32 v6, 3, v43
	s_load_dwordx2 s[2:3], s[4:5], 0x8
	v_sub_nc_u16 v3, v48, v3
	v_lshrrev_b16 v59, 13, v4
	v_mul_lo_u16 v4, 0x89, v49
	v_lshlrev_b32_e32 v5, 3, v58
	global_load_dwordx2 v[20:21], v6, s[16:17] offset:464
	v_and_b32_e32 v60, 0xff, v3
	v_mul_lo_u16 v3, v59, 60
	v_lshrrev_b16 v61, 13, v4
	global_load_dwordx2 v[22:23], v5, s[16:17] offset:464
	v_lshlrev_b32_e32 v4, 3, v60
	v_sub_nc_u16 v3, v47, v3
	global_load_dwordx2 v[24:25], v4, s[16:17] offset:464
	v_mul_lo_u16 v5, v61, 60
	v_and_b32_e32 v62, 0xff, v3
	v_sub_nc_u16 v3, v49, v5
	v_add_nc_u32_e32 v5, 0x2000, v52
	v_and_b32_e32 v63, 0xff, v3
	v_lshlrev_b32_e32 v3, 3, v63
	global_load_dwordx2 v[28:29], v3, s[16:17] offset:464
	v_lshlrev_b32_e32 v4, 3, v62
	v_add_nc_u32_e32 v3, 0x3800, v52
	global_load_dwordx2 v[26:27], v4, s[16:17] offset:464
	ds_read2_b64 v[6:9], v5 offset0:56 offset1:236
	v_add_nc_u32_e32 v4, 0x2c00, v52
	ds_read2_b64 v[10:13], v4 offset0:32 offset1:212
	ds_read_b64 v[30:31], v52
	ds_read_b64 v[32:33], v53
	ds_read_b32 v66, v53 offset:4
	ds_read_b32 v67, v54
	ds_read_b64 v[34:35], v54
	ds_read2_b64 v[14:17], v3 offset0:8 offset1:188
	s_waitcnt vmcnt(5) lgkmcnt(0)
	v_mul_f32_e32 v64, v19, v7
	v_mul_f32_e32 v65, v19, v6
	v_fma_f32 v64, v18, v6, -v64
	v_fmac_f32_e32 v65, v18, v7
	ds_read_b32 v69, v54 offset:4
	ds_read_b32 v70, v38
	ds_read_b64 v[6:7], v38
	ds_read_b32 v71, v38 offset:4
	s_waitcnt vmcnt(4)
	v_mul_f32_e32 v18, v21, v9
	v_mul_f32_e32 v68, v21, v8
	s_waitcnt vmcnt(3)
	v_mul_f32_e32 v19, v23, v11
	v_fma_f32 v72, v20, v8, -v18
	v_fmac_f32_e32 v68, v20, v9
	v_mul_f32_e32 v20, v23, v10
	ds_read_b32 v73, v51
	ds_read_b64 v[8:9], v51
	v_fma_f32 v75, v22, v10, -v19
	v_mul_u32_u24_e32 v10, 0x48, v49
	s_waitcnt vmcnt(2)
	v_mul_f32_e32 v18, v25, v13
	v_mul_f32_e32 v74, v25, v12
	v_fmac_f32_e32 v20, v22, v11
	v_cndmask_b32_e64 v11, 0, 0x78, s1
	v_cmp_gt_u32_e64 s1, 0x384, v0
	v_fma_f32 v78, v24, v12, -v18
	v_fmac_f32_e32 v74, v24, v13
	v_add_nc_u32_e32 v13, 0xffffff9c, v55
	v_add_nc_u32_e32 v18, v1, v11
	v_add3_u32 v21, 0, v10, v57
	v_and_b32_e32 v22, 0xffff, v41
	ds_read_b32 v76, v53
	ds_read_b32 v77, v51 offset:4
	v_cndmask_b32_e64 v1, v13, v46, s1
	v_cmp_gt_u32_e64 s1, 0x2d0, v0
	v_and_b32_e32 v19, 0xffff, v40
	v_and_b32_e32 v23, 0xffff, v42
	;; [unrolled: 1-line block ×3, first 2 shown]
	v_mul_i32_i24_e32 v25, 0x48, v18
	v_mad_u32_u24 v22, 0x78, v22, v58
	s_waitcnt lgkmcnt(5)
	v_sub_f32_e32 v6, v6, v78
	v_mad_u32_u24 v23, 0x78, v23, v60
	s_waitcnt vmcnt(1)
	v_mul_f32_e32 v11, v17, v29
	v_mul_f32_e32 v29, v16, v29
	v_mad_u32_u24 v24, 0x78, v24, v62
	v_mul_u32_u24_e32 v22, 0x48, v22
	v_sub_f32_e32 v7, v7, v74
	v_fma_f32 v82, v16, v28, -v11
	s_waitcnt vmcnt(0)
	v_mul_f32_e32 v12, v27, v15
	v_mul_f32_e32 v79, v27, v14
	v_fmac_f32_e32 v29, v17, v28
	ds_read_b64 v[16:17], v21
	v_mov_b32_e32 v11, v2
	v_fma_f32 v81, v26, v14, -v12
	v_add_nc_u32_e32 v12, 0xffffffb0, v55
	v_fmac_f32_e32 v79, v26, v15
	v_and_b32_e32 v26, 0xffff, v61
	v_mad_u32_u24 v27, 0x78, v19, v43
	v_mul_u32_u24_e32 v24, 0x48, v24
	v_cndmask_b32_e64 v10, v12, v50, s1
	v_add3_u32 v40, 0, v22, v57
	v_sub_f32_e32 v22, v30, v64
	s_waitcnt lgkmcnt(0)
	s_barrier
	v_lshlrev_b64 v[18:19], 3, v[10:11]
	v_add3_u32 v11, 0, v25, v57
	v_mad_u32_u24 v25, 0x78, v26, v63
	v_mul_u32_u24_e32 v26, 0x48, v27
	v_mul_u32_u24_e32 v27, 0x48, v23
	v_sub_f32_e32 v23, v31, v65
	buffer_gl0_inv
	v_mul_u32_u24_e32 v25, 0x48, v25
	v_add3_u32 v42, 0, v24, v57
	v_fma_f32 v24, v30, 2.0, -v22
	ds_write_b64 v11, v[22:23] offset:4320
	v_sub_f32_e32 v22, v32, v72
	v_add3_u32 v43, 0, v25, v57
	v_fma_f32 v25, v31, 2.0, -v23
	v_sub_f32_e32 v23, v33, v68
	v_cndmask_b32_e64 v12, v36, v48, s0
	v_add3_u32 v36, 0, v26, v57
	v_add3_u32 v41, 0, v27, v57
	v_sub_f32_e32 v26, v34, v75
	v_sub_f32_e32 v27, v35, v20
	v_lshlrev_b64 v[14:15], 3, v[1:2]
	v_mov_b32_e32 v13, v2
	v_sub_f32_e32 v8, v8, v81
	v_sub_f32_e32 v9, v9, v79
	;; [unrolled: 1-line block ×4, first 2 shown]
	ds_write_b64 v11, v[24:25]
	v_fma_f32 v24, v76, 2.0, -v22
	v_fma_f32 v25, v66, 2.0, -v23
	;; [unrolled: 1-line block ×4, first 2 shown]
	v_add_co_u32 v14, s0, s16, v14
	v_fma_f32 v32, v70, 2.0, -v6
	v_fma_f32 v33, v71, 2.0, -v7
	;; [unrolled: 1-line block ×6, first 2 shown]
	ds_write_b64 v36, v[22:23] offset:4320
	ds_write_b64 v36, v[24:25]
	ds_write_b64 v40, v[30:31]
	ds_write_b64 v40, v[26:27] offset:4320
	ds_write_b64 v41, v[32:33]
	ds_write_b64 v41, v[6:7] offset:4320
	ds_write_b64 v42, v[34:35]
	ds_write_b64 v42, v[8:9] offset:4320
	ds_write_b64 v43, v[16:17]
	ds_write_b64 v43, v[28:29] offset:4320
	v_lshlrev_b64 v[6:7], 3, v[12:13]
	v_add_co_ci_u32_e64 v15, s0, s17, v15, s0
	v_add_co_u32 v8, s0, s16, v18
	v_add_co_ci_u32_e64 v9, s0, s17, v19, s0
	s_waitcnt lgkmcnt(0)
	s_barrier
	buffer_gl0_inv
	s_clause 0x1
	global_load_dwordx2 v[22:23], v80, s[16:17] offset:944
	global_load_dwordx2 v[24:25], v[14:15], off offset:944
	v_add_co_u32 v6, s0, s16, v6
	v_add_co_ci_u32_e64 v7, s0, s17, v7, s0
	s_clause 0x1
	global_load_dwordx2 v[17:18], v[8:9], off offset:944
	global_load_dwordx2 v[19:20], v[6:7], off offset:944
	v_subrev_nc_u32_e32 v6, 40, v55
	v_cmp_gt_u32_e64 s0, 0x168, v0
	v_mov_b32_e32 v69, v2
	v_subrev_nc_u32_e32 v8, 20, v55
	v_mov_b32_e32 v70, v2
	v_mul_lo_u32 v36, v39, v55
	v_cndmask_b32_e64 v68, v6, v47, s0
	v_cmp_gt_u32_e64 s0, 0xb4, v0
	v_mul_lo_u32 v64, v39, v56
	v_mov_b32_e32 v78, 3
	v_mul_lo_u32 v65, v39, v10
	v_lshlrev_b64 v[6:7], 3, v[68:69]
	v_cndmask_b32_e64 v69, v8, v49, s0
	v_bfe_u32 v2, v36, 8, 8
	v_lshlrev_b32_sdwa v0, v78, v36 dst_sel:DWORD dst_unused:UNUSED_PAD src0_sel:DWORD src1_sel:BYTE_0
	v_mul_lo_u32 v61, v39, v1
	v_bfe_u32 v15, v64, 8, 8
	v_lshlrev_b64 v[8:9], 3, v[69:70]
	v_add_co_u32 v6, s0, s16, v6
	v_add_co_ci_u32_e64 v7, s0, s17, v7, s0
	v_lshl_or_b32 v2, v2, 3, 0x800
	v_add_co_u32 v13, s0, s16, v8
	v_add_co_ci_u32_e64 v14, s0, s17, v9, s0
	global_load_dwordx2 v[32:33], v[6:7], off offset:944
	v_lshl_or_b32 v26, v15, 3, 0x800
	v_add_nc_u32_e32 v9, 0x78, v10
	global_load_dwordx2 v[34:35], v[13:14], off offset:944
	ds_read2_b64 v[5:8], v5 offset0:56 offset1:236
	v_add_nc_u32_e32 v13, 0x78, v1
	s_clause 0x1
	global_load_dwordx2 v[40:41], v0, s[2:3]
	global_load_dwordx2 v[42:43], v2, s[2:3]
	v_mul_lo_u32 v67, v39, v9
	v_bfe_u32 v9, v65, 8, 8
	v_bfe_u32 v0, v61, 8, 8
	v_mul_lo_u32 v66, v39, v13
	ds_read2_b64 v[13:16], v4 offset0:32 offset1:212
	v_lshlrev_b32_sdwa v11, v78, v64 dst_sel:DWORD dst_unused:UNUSED_PAD src0_sel:DWORD src1_sel:BYTE_0
	v_lshlrev_b32_sdwa v27, v78, v61 dst_sel:DWORD dst_unused:UNUSED_PAD src0_sel:DWORD src1_sel:BYTE_0
	v_lshl_or_b32 v2, v9, 3, 0x800
	v_lshl_or_b32 v9, v0, 3, 0x800
	s_clause 0x1
	global_load_dwordx2 v[55:56], v11, s[2:3]
	global_load_dwordx2 v[57:58], v26, s[2:3]
	v_bfe_u32 v4, v66, 8, 8
	v_lshlrev_b32_sdwa v28, v78, v66 dst_sel:DWORD dst_unused:UNUSED_PAD src0_sel:DWORD src1_sel:BYTE_0
	s_clause 0x1
	global_load_dwordx2 v[59:60], v27, s[2:3]
	global_load_dwordx2 v[62:63], v9, s[2:3]
	v_lshlrev_b32_sdwa v29, v78, v65 dst_sel:DWORD dst_unused:UNUSED_PAD src0_sel:DWORD src1_sel:BYTE_0
	v_lshlrev_b32_sdwa v31, v78, v67 dst_sel:DWORD dst_unused:UNUSED_PAD src0_sel:DWORD src1_sel:BYTE_0
	v_lshl_or_b32 v4, v4, 3, 0x800
	v_mul_lo_u32 v80, v39, v12
	v_bfe_u32 v61, v61, 16, 8
	v_sub_nc_u32_e32 v10, v50, v10
	v_sub_nc_u32_e32 v1, v46, v1
	v_lshl_or_b32 v61, v61, 3, 0x1000
	v_add_nc_u32_e32 v10, v10, v50
	v_add_nc_u32_e32 v1, v1, v46
	s_waitcnt vmcnt(11) lgkmcnt(1)
	v_mul_f32_e32 v11, v23, v6
	v_mul_f32_e32 v0, v23, v5
	s_waitcnt vmcnt(10)
	v_mul_f32_e32 v9, v25, v8
	v_mul_f32_e32 v26, v25, v7
	v_fma_f32 v11, v22, v5, -v11
	v_fmac_f32_e32 v0, v22, v6
	v_bfe_u32 v5, v67, 8, 8
	v_fma_f32 v27, v24, v7, -v9
	v_fmac_f32_e32 v26, v24, v8
	s_clause 0x1
	global_load_dwordx2 v[6:7], v28, s[2:3]
	global_load_dwordx2 v[8:9], v4, s[2:3]
	s_waitcnt vmcnt(11) lgkmcnt(0)
	v_mul_f32_e32 v4, v18, v14
	v_mul_f32_e32 v28, v18, v13
	s_clause 0x1
	global_load_dwordx2 v[70:71], v29, s[2:3]
	global_load_dwordx2 v[72:73], v2, s[2:3]
	s_waitcnt vmcnt(12)
	v_mul_f32_e32 v2, v20, v16
	v_mul_f32_e32 v29, v20, v15
	v_fma_f32 v30, v17, v13, -v4
	v_lshl_or_b32 v4, v5, 3, 0x800
	v_fmac_f32_e32 v28, v17, v14
	global_load_dwordx2 v[13:14], v31, s[2:3]
	v_fmac_f32_e32 v29, v19, v16
	v_bfe_u32 v16, v36, 16, 8
	global_load_dwordx2 v[74:75], v4, s[2:3]
	v_fma_f32 v31, v19, v15, -v2
	ds_read2_b64 v[2:5], v3 offset0:8 offset1:188
	v_bfe_u32 v17, v64, 16, 8
	v_mul_lo_u32 v36, v39, v68
	s_waitcnt vmcnt(10)
	v_mul_f32_e32 v79, v40, v43
	s_waitcnt lgkmcnt(0)
	v_mul_f32_e32 v15, v33, v3
	v_mul_f32_e32 v22, v33, v2
	;; [unrolled: 1-line block ×3, first 2 shown]
	v_fmac_f32_e32 v79, v41, v42
	v_fma_f32 v24, v32, v2, -v15
	v_fmac_f32_e32 v22, v32, v3
	v_mul_f32_e32 v2, v5, v35
	v_lshl_or_b32 v3, v16, 3, 0x1000
	v_lshl_or_b32 v15, v17, 3, 0x1000
	v_bfe_u32 v17, v65, 16, 8
	s_clause 0x1
	global_load_dwordx2 v[76:77], v3, s[2:3]
	global_load_dwordx2 v[15:16], v15, s[2:3]
	v_fma_f32 v25, v4, v34, -v2
	v_mul_f32_e32 v2, v41, v43
	v_lshl_or_b32 v3, v17, 3, 0x1000
	v_add_nc_u32_e32 v4, 0x78, v12
	v_bfe_u32 v32, v67, 16, 8
	v_fmac_f32_e32 v23, v5, v34
	v_fma_f32 v81, v40, v42, -v2
	global_load_dwordx2 v[17:18], v3, s[2:3]
	s_waitcnt vmcnt(11)
	v_mul_f32_e32 v2, v56, v58
	v_bfe_u32 v3, v66, 16, 8
	v_mul_lo_u32 v33, v39, v4
	s_waitcnt vmcnt(9)
	v_mul_f32_e32 v5, v60, v63
	v_lshlrev_b32_sdwa v4, v78, v80 dst_sel:DWORD dst_unused:UNUSED_PAD src0_sel:DWORD src1_sel:BYTE_0
	v_fma_f32 v82, v55, v57, -v2
	v_bfe_u32 v2, v80, 8, 8
	v_lshl_or_b32 v3, v3, 3, 0x1000
	v_mul_f32_e32 v66, v59, v63
	v_fma_f32 v83, v59, v62, -v5
	v_mul_f32_e32 v65, v55, v58
	v_lshl_or_b32 v34, v2, 3, 0x800
	global_load_dwordx2 v[19:20], v3, s[2:3]
	v_lshl_or_b32 v3, v32, 3, 0x1000
	v_fmac_f32_e32 v66, v60, v62
	v_fmac_f32_e32 v65, v56, v57
	v_sub_nc_u32_e32 v12, v48, v12
	v_add_nc_u32_e32 v12, v12, v48
	s_waitcnt vmcnt(8)
	v_mul_f32_e32 v2, v7, v9
	v_mul_f32_e32 v64, v6, v9
	v_bfe_u32 v9, v33, 8, 8
	s_waitcnt vmcnt(6)
	v_mul_f32_e32 v32, v71, v73
	v_mul_f32_e32 v62, v70, v73
	v_fma_f32 v67, v6, v8, -v2
	v_fmac_f32_e32 v64, v7, v8
	s_clause 0x2
	global_load_dwordx2 v[2:3], v3, s[2:3]
	global_load_dwordx2 v[4:5], v4, s[2:3]
	;; [unrolled: 1-line block ×3, first 2 shown]
	v_fma_f32 v63, v70, v72, -v32
	v_lshlrev_b32_sdwa v34, v78, v33 dst_sel:DWORD dst_unused:UNUSED_PAD src0_sel:DWORD src1_sel:BYTE_0
	v_lshl_or_b32 v35, v9, 3, 0x800
	v_fmac_f32_e32 v62, v71, v72
	s_waitcnt vmcnt(7)
	v_mul_f32_e32 v8, v14, v75
	v_mul_f32_e32 v32, v13, v75
	v_mul_lo_u32 v72, v39, v69
	v_sub_nc_u32_e32 v75, v49, v69
	v_fma_f32 v40, v13, v74, -v8
	v_fmac_f32_e32 v32, v14, v74
	s_clause 0x1
	global_load_dwordx2 v[8:9], v34, s[2:3]
	global_load_dwordx2 v[13:14], v35, s[2:3]
	v_bfe_u32 v34, v33, 16, 8
	v_sub_nc_u32_e32 v74, v47, v68
	v_bfe_u32 v50, v72, 16, 8
	v_add_nc_u32_e32 v48, v75, v49
	v_add_nc_u32_e32 v47, v74, v47
	v_lshl_or_b32 v50, v50, 3, 0x1000
	v_mul_lo_u32 v75, s12, v48
	v_add_nc_u32_e32 v48, 0x78, v48
	v_mul_lo_u32 v48, s12, v48
	v_add_lshl_u32 v48, v37, v48, 3
	s_waitcnt vmcnt(7)
	v_mul_f32_e32 v49, v65, v16
	v_mul_f32_e32 v46, v82, v16
	v_cndmask_b32_e32 v48, -1, v48, vcc_lo
	v_fma_f32 v49, v15, v82, -v49
	v_fmac_f32_e32 v46, v15, v65
	v_mul_lo_u32 v65, s12, v47
	v_add_nc_u32_e32 v47, 0x78, v47
	v_mul_lo_u32 v47, s12, v47
	v_add_lshl_u32 v47, v37, v47, 3
	v_cndmask_b32_e32 v47, -1, v47, vcc_lo
	s_waitcnt vmcnt(2)
	v_mul_f32_e32 v35, v5, v7
	v_mul_f32_e32 v33, v4, v7
	v_lshl_or_b32 v7, v34, 3, 0x1000
	v_fma_f32 v41, v4, v6, -v35
	v_fmac_f32_e32 v33, v5, v6
	v_bfe_u32 v5, v36, 8, 8
	global_load_dwordx2 v[6:7], v7, s[2:3]
	s_waitcnt vmcnt(1)
	v_mul_f32_e32 v4, v9, v14
	v_mul_f32_e32 v34, v8, v14
	v_lshl_or_b32 v5, v5, 3, 0x800
	v_fma_f32 v42, v8, v13, -v4
	v_lshlrev_b32_sdwa v4, v78, v36 dst_sel:DWORD dst_unused:UNUSED_PAD src0_sel:DWORD src1_sel:BYTE_0
	v_fmac_f32_e32 v34, v9, v13
	s_clause 0x1
	global_load_dwordx2 v[8:9], v4, s[2:3]
	global_load_dwordx2 v[13:14], v5, s[2:3]
	v_add_nc_u32_e32 v4, 0x78, v68
	v_mul_lo_u32 v43, v39, v4
	v_bfe_u32 v4, v36, 16, 8
	v_lshl_or_b32 v4, v4, 3, 0x1000
	v_lshlrev_b32_sdwa v35, v78, v43 dst_sel:DWORD dst_unused:UNUSED_PAD src0_sel:DWORD src1_sel:BYTE_0
	s_clause 0x1
	global_load_dwordx2 v[4:5], v4, s[2:3]
	global_load_dwordx2 v[55:56], v35, s[2:3]
	s_waitcnt vmcnt(2)
	v_mul_f32_e32 v35, v9, v14
	v_mul_f32_e32 v36, v8, v14
	v_fma_f32 v35, v8, v13, -v35
	v_bfe_u32 v8, v43, 8, 8
	v_fmac_f32_e32 v36, v9, v13
	v_bfe_u32 v13, v72, 8, 8
	v_bfe_u32 v9, v43, 16, 8
	v_lshl_or_b32 v8, v8, 3, 0x800
	v_lshl_or_b32 v43, v13, 3, 0x800
	;; [unrolled: 1-line block ×3, first 2 shown]
	global_load_dwordx2 v[13:14], v8, s[2:3]
	v_lshlrev_b32_sdwa v8, v78, v72 dst_sel:DWORD dst_unused:UNUSED_PAD src0_sel:DWORD src1_sel:BYTE_0
	s_clause 0x2
	global_load_dwordx2 v[57:58], v8, s[2:3]
	global_load_dwordx2 v[59:60], v43, s[2:3]
	global_load_dwordx2 v[8:9], v9, s[2:3]
	s_waitcnt vmcnt(3)
	v_mul_f32_e32 v43, v56, v14
	v_fma_f32 v43, v55, v13, -v43
	v_mul_f32_e32 v55, v55, v14
	v_fmac_f32_e32 v55, v56, v13
	s_waitcnt vmcnt(1)
	v_mul_f32_e32 v13, v58, v60
	v_fma_f32 v56, v57, v59, -v13
	v_add_nc_u32_e32 v13, 0x78, v69
	v_mul_f32_e32 v57, v57, v60
	v_mul_lo_u32 v13, v39, v13
	v_fmac_f32_e32 v57, v58, v59
	v_bfe_u32 v39, v13, 8, 8
	v_lshlrev_b32_sdwa v14, v78, v13 dst_sel:DWORD dst_unused:UNUSED_PAD src0_sel:DWORD src1_sel:BYTE_0
	v_bfe_u32 v13, v13, 16, 8
	v_lshl_or_b32 v39, v39, 3, 0x800
	v_lshl_or_b32 v13, v13, 3, 0x1000
	s_clause 0x3
	global_load_dwordx2 v[59:60], v14, s[2:3]
	global_load_dwordx2 v[70:71], v39, s[2:3]
	;; [unrolled: 1-line block ×4, first 2 shown]
	v_bfe_u32 v61, v80, 16, 8
	global_load_dwordx2 v[72:73], v50, s[2:3]
	v_mul_lo_u32 v50, s12, v10
	v_add_nc_u32_e32 v10, 0x78, v10
	v_lshl_or_b32 v61, v61, 3, 0x1000
	v_mul_lo_u32 v10, s12, v10
	v_add_lshl_u32 v50, v37, v50, 3
	v_cndmask_b32_e32 v50, -1, v50, vcc_lo
	v_add_lshl_u32 v10, v37, v10, 3
	s_waitcnt vmcnt(3)
	v_mul_f32_e32 v39, v60, v71
	s_waitcnt vmcnt(1)
	v_mul_f32_e32 v15, v66, v69
	v_mul_f32_e32 v69, v83, v69
	v_fma_f32 v58, v59, v70, -v39
	v_mul_f32_e32 v59, v59, v71
	v_fma_f32 v74, v68, v83, -v15
	v_fmac_f32_e32 v69, v68, v66
	v_mul_f32_e32 v15, v64, v20
	v_mul_f32_e32 v68, v67, v20
	v_fmac_f32_e32 v59, v60, v70
	global_load_dwordx2 v[70:71], v61, s[2:3]
	v_mul_lo_u32 v61, s12, v12
	v_fma_f32 v67, v19, v67, -v15
	v_fmac_f32_e32 v68, v19, v64
	v_mul_f32_e32 v19, v62, v18
	v_mul_f32_e32 v64, v63, v18
	ds_read_b64 v[15:16], v53
	v_add_nc_u32_e32 v12, 0x78, v12
	v_mul_lo_u32 v66, s12, v1
	v_fma_f32 v63, v17, v63, -v19
	v_fmac_f32_e32 v64, v17, v62
	ds_read_b64 v[17:18], v54
	v_add_nc_u32_e32 v1, 0x78, v1
	ds_read_b64 v[19:20], v38
	v_mul_lo_u32 v12, s12, v12
	v_mul_f32_e32 v39, v79, v77
	v_mul_f32_e32 v60, v81, v77
	v_mul_lo_u32 v1, s12, v1
	v_add_lshl_u32 v61, v37, v61, 3
	v_add_lshl_u32 v62, v37, v65, 3
	v_fma_f32 v39, v76, v81, -v39
	v_fmac_f32_e32 v60, v76, v79
	v_add_lshl_u32 v65, v37, v75, 3
	v_add_lshl_u32 v66, v37, v66, 3
	;; [unrolled: 1-line block ×4, first 2 shown]
	ds_read_b32 v37, v53 offset:4
	ds_read_b32 v75, v54
	s_waitcnt lgkmcnt(4)
	v_sub_f32_e32 v27, v15, v27
	v_sub_f32_e32 v26, v16, v26
	ds_read_b32 v54, v54 offset:4
	ds_read_b32 v76, v38
	ds_read_b64 v[15:16], v52
	ds_read_b32 v38, v38 offset:4
	v_cndmask_b32_e32 v77, -1, v10, vcc_lo
	s_waitcnt lgkmcnt(7)
	v_sub_f32_e32 v30, v17, v30
	v_sub_f32_e32 v28, v18, v28
	ds_read_b64 v[17:18], v51
	s_waitcnt lgkmcnt(7)
	v_sub_f32_e32 v31, v19, v31
	v_sub_f32_e32 v29, v20, v29
	ds_read_b32 v52, v51
	ds_read_b64 v[19:20], v21
	v_cndmask_b32_e32 v79, -1, v1, vcc_lo
	ds_read_b32 v1, v53
	ds_read_b32 v10, v51 offset:4
	v_cndmask_b32_e32 v78, -1, v12, vcc_lo
	v_mul_f32_e32 v21, v35, v5
	v_cndmask_b32_e32 v66, -1, v66, vcc_lo
	v_cndmask_b32_e32 v61, -1, v61, vcc_lo
	;; [unrolled: 1-line block ×4, first 2 shown]
	s_waitcnt lgkmcnt(10)
	v_fma_f32 v37, v37, 2.0, -v26
	s_waitcnt lgkmcnt(9)
	v_fma_f32 v53, v75, 2.0, -v30
	;; [unrolled: 2-line block ×3, first 2 shown]
	s_waitcnt lgkmcnt(6)
	v_sub_f32_e32 v12, v15, v11
	v_mul_f32_e32 v11, v32, v3
	s_waitcnt lgkmcnt(5)
	v_fma_f32 v38, v38, 2.0, -v29
	v_fmac_f32_e32 v21, v4, v36
	s_waitcnt lgkmcnt(4)
	v_sub_f32_e32 v22, v18, v22
	v_sub_f32_e32 v18, v16, v0
	v_mul_f32_e32 v0, v40, v3
	v_sub_f32_e32 v24, v17, v24
	v_fma_f32 v40, v2, v40, -v11
	v_mul_f32_e32 v11, v34, v7
	v_mul_f32_e32 v17, v42, v7
	v_fmac_f32_e32 v0, v2, v32
	s_waitcnt lgkmcnt(2)
	v_sub_f32_e32 v51, v20, v23
	v_sub_f32_e32 v25, v19, v25
	v_mul_f32_e32 v23, v43, v9
	v_fmac_f32_e32 v17, v6, v34
	v_fma_f32 v34, v15, 2.0, -v12
	v_fma_f32 v16, v16, 2.0, -v18
	s_waitcnt vmcnt(1)
	v_mul_f32_e32 v7, v57, v73
	v_fma_f32 v52, v52, 2.0, -v24
	v_fmac_f32_e32 v23, v8, v55
	v_mul_f32_e32 v15, v31, v17
	s_waitcnt vmcnt(0)
	v_mul_f32_e32 v3, v33, v71
	v_mul_f32_e32 v2, v41, v71
	s_waitcnt lgkmcnt(0)
	v_fma_f32 v71, v10, 2.0, -v22
	v_mul_f32_e32 v10, v37, v69
	v_fma_f32 v32, v70, v41, -v3
	v_mul_f32_e32 v3, v36, v5
	v_fmac_f32_e32 v2, v70, v33
	v_mul_f32_e32 v5, v55, v9
	v_fma_f32 v33, v6, v42, -v11
	v_mul_f32_e32 v6, v56, v73
	v_mul_f32_e32 v9, v59, v14
	;; [unrolled: 1-line block ×3, first 2 shown]
	v_fma_f32 v42, v20, 2.0, -v51
	v_fma_f32 v20, v1, 2.0, -v27
	;; [unrolled: 1-line block ×4, first 2 shown]
	v_fma_f32 v35, v4, v35, -v3
	v_fma_f32 v36, v8, v43, -v5
	v_fmac_f32_e32 v6, v72, v57
	v_fmac_f32_e32 v14, v13, v59
	v_mul_f32_e32 v4, v16, v60
	v_mul_f32_e32 v1, v34, v60
	;; [unrolled: 1-line block ×5, first 2 shown]
	v_fma_f32 v43, v72, v56, -v7
	v_mul_f32_e32 v46, v26, v68
	v_mul_f32_e32 v7, v27, v68
	v_fma_f32 v55, v13, v58, -v9
	v_mul_f32_e32 v56, v54, v64
	v_mul_f32_e32 v9, v53, v64
	;; [unrolled: 1-line block ×7, first 2 shown]
	v_fma_f32 v0, v34, v39, -v4
	v_mul_f32_e32 v34, v71, v21
	v_mul_f32_e32 v17, v52, v21
	v_fmac_f32_e32 v1, v16, v39
	v_mul_f32_e32 v39, v22, v23
	v_mul_f32_e32 v19, v24, v23
	v_fma_f32 v2, v12, v49, -v8
	v_mul_f32_e32 v60, v42, v6
	v_mul_f32_e32 v21, v41, v6
	v_fmac_f32_e32 v3, v18, v49
	v_mul_f32_e32 v49, v51, v14
	v_mul_f32_e32 v23, v25, v14
	v_fma_f32 v4, v20, v74, -v10
	v_fmac_f32_e32 v5, v37, v74
	v_fma_f32 v6, v27, v67, -v46
	v_fmac_f32_e32 v7, v26, v67
	;; [unrolled: 2-line block ×10, first 2 shown]
	buffer_store_dwordx2 v[0:1], v44, s[8:11], s6 offen
	buffer_store_dwordx2 v[2:3], v45, s[8:11], s6 offen
	;; [unrolled: 1-line block ×12, first 2 shown]
	s_endpgm
	.section	.rodata,"a",@progbits
	.p2align	6, 0x0
	.amdhsa_kernel fft_rtc_fwd_len240_factors_2_3_10_2_2_wgs_180_tpt_20_dim3_sp_ip_CI_sbcc_twdbase8_3step_dirReg_intrinsicReadWrite
		.amdhsa_group_segment_fixed_size 0
		.amdhsa_private_segment_fixed_size 0
		.amdhsa_kernarg_size 88
		.amdhsa_user_sgpr_count 6
		.amdhsa_user_sgpr_private_segment_buffer 1
		.amdhsa_user_sgpr_dispatch_ptr 0
		.amdhsa_user_sgpr_queue_ptr 0
		.amdhsa_user_sgpr_kernarg_segment_ptr 1
		.amdhsa_user_sgpr_dispatch_id 0
		.amdhsa_user_sgpr_flat_scratch_init 0
		.amdhsa_user_sgpr_private_segment_size 0
		.amdhsa_wavefront_size32 1
		.amdhsa_uses_dynamic_stack 0
		.amdhsa_system_sgpr_private_segment_wavefront_offset 0
		.amdhsa_system_sgpr_workgroup_id_x 1
		.amdhsa_system_sgpr_workgroup_id_y 0
		.amdhsa_system_sgpr_workgroup_id_z 0
		.amdhsa_system_sgpr_workgroup_info 0
		.amdhsa_system_vgpr_workitem_id 0
		.amdhsa_next_free_vgpr 84
		.amdhsa_next_free_sgpr 28
		.amdhsa_reserve_vcc 1
		.amdhsa_reserve_flat_scratch 0
		.amdhsa_float_round_mode_32 0
		.amdhsa_float_round_mode_16_64 0
		.amdhsa_float_denorm_mode_32 3
		.amdhsa_float_denorm_mode_16_64 3
		.amdhsa_dx10_clamp 1
		.amdhsa_ieee_mode 1
		.amdhsa_fp16_overflow 0
		.amdhsa_workgroup_processor_mode 1
		.amdhsa_memory_ordered 1
		.amdhsa_forward_progress 0
		.amdhsa_shared_vgpr_count 0
		.amdhsa_exception_fp_ieee_invalid_op 0
		.amdhsa_exception_fp_denorm_src 0
		.amdhsa_exception_fp_ieee_div_zero 0
		.amdhsa_exception_fp_ieee_overflow 0
		.amdhsa_exception_fp_ieee_underflow 0
		.amdhsa_exception_fp_ieee_inexact 0
		.amdhsa_exception_int_div_zero 0
	.end_amdhsa_kernel
	.text
.Lfunc_end0:
	.size	fft_rtc_fwd_len240_factors_2_3_10_2_2_wgs_180_tpt_20_dim3_sp_ip_CI_sbcc_twdbase8_3step_dirReg_intrinsicReadWrite, .Lfunc_end0-fft_rtc_fwd_len240_factors_2_3_10_2_2_wgs_180_tpt_20_dim3_sp_ip_CI_sbcc_twdbase8_3step_dirReg_intrinsicReadWrite
                                        ; -- End function
	.section	.AMDGPU.csdata,"",@progbits
; Kernel info:
; codeLenInByte = 9416
; NumSgprs: 30
; NumVgprs: 84
; ScratchSize: 0
; MemoryBound: 0
; FloatMode: 240
; IeeeMode: 1
; LDSByteSize: 0 bytes/workgroup (compile time only)
; SGPRBlocks: 3
; VGPRBlocks: 10
; NumSGPRsForWavesPerEU: 30
; NumVGPRsForWavesPerEU: 84
; Occupancy: 10
; WaveLimiterHint : 0
; COMPUTE_PGM_RSRC2:SCRATCH_EN: 0
; COMPUTE_PGM_RSRC2:USER_SGPR: 6
; COMPUTE_PGM_RSRC2:TRAP_HANDLER: 0
; COMPUTE_PGM_RSRC2:TGID_X_EN: 1
; COMPUTE_PGM_RSRC2:TGID_Y_EN: 0
; COMPUTE_PGM_RSRC2:TGID_Z_EN: 0
; COMPUTE_PGM_RSRC2:TIDIG_COMP_CNT: 0
	.text
	.p2alignl 6, 3214868480
	.fill 48, 4, 3214868480
	.type	__hip_cuid_41e0a5d3c46bc9fc,@object ; @__hip_cuid_41e0a5d3c46bc9fc
	.section	.bss,"aw",@nobits
	.globl	__hip_cuid_41e0a5d3c46bc9fc
__hip_cuid_41e0a5d3c46bc9fc:
	.byte	0                               ; 0x0
	.size	__hip_cuid_41e0a5d3c46bc9fc, 1

	.ident	"AMD clang version 19.0.0git (https://github.com/RadeonOpenCompute/llvm-project roc-6.4.0 25133 c7fe45cf4b819c5991fe208aaa96edf142730f1d)"
	.section	".note.GNU-stack","",@progbits
	.addrsig
	.addrsig_sym __hip_cuid_41e0a5d3c46bc9fc
	.amdgpu_metadata
---
amdhsa.kernels:
  - .args:
      - .actual_access:  read_only
        .address_space:  global
        .offset:         0
        .size:           8
        .value_kind:     global_buffer
      - .address_space:  global
        .offset:         8
        .size:           8
        .value_kind:     global_buffer
      - .actual_access:  read_only
        .address_space:  global
        .offset:         16
        .size:           8
        .value_kind:     global_buffer
      - .actual_access:  read_only
        .address_space:  global
        .offset:         24
        .size:           8
        .value_kind:     global_buffer
      - .offset:         32
        .size:           8
        .value_kind:     by_value
      - .actual_access:  read_only
        .address_space:  global
        .offset:         40
        .size:           8
        .value_kind:     global_buffer
      - .actual_access:  read_only
        .address_space:  global
        .offset:         48
        .size:           8
        .value_kind:     global_buffer
      - .offset:         56
        .size:           4
        .value_kind:     by_value
      - .actual_access:  read_only
        .address_space:  global
        .offset:         64
        .size:           8
        .value_kind:     global_buffer
      - .actual_access:  read_only
        .address_space:  global
        .offset:         72
        .size:           8
        .value_kind:     global_buffer
      - .address_space:  global
        .offset:         80
        .size:           8
        .value_kind:     global_buffer
    .group_segment_fixed_size: 0
    .kernarg_segment_align: 8
    .kernarg_segment_size: 88
    .language:       OpenCL C
    .language_version:
      - 2
      - 0
    .max_flat_workgroup_size: 180
    .name:           fft_rtc_fwd_len240_factors_2_3_10_2_2_wgs_180_tpt_20_dim3_sp_ip_CI_sbcc_twdbase8_3step_dirReg_intrinsicReadWrite
    .private_segment_fixed_size: 0
    .sgpr_count:     30
    .sgpr_spill_count: 0
    .symbol:         fft_rtc_fwd_len240_factors_2_3_10_2_2_wgs_180_tpt_20_dim3_sp_ip_CI_sbcc_twdbase8_3step_dirReg_intrinsicReadWrite.kd
    .uniform_work_group_size: 1
    .uses_dynamic_stack: false
    .vgpr_count:     84
    .vgpr_spill_count: 0
    .wavefront_size: 32
    .workgroup_processor_mode: 1
amdhsa.target:   amdgcn-amd-amdhsa--gfx1030
amdhsa.version:
  - 1
  - 2
...

	.end_amdgpu_metadata
